;; amdgpu-corpus repo=ROCm/rocFFT kind=compiled arch=gfx1030 opt=O3
	.text
	.amdgcn_target "amdgcn-amd-amdhsa--gfx1030"
	.amdhsa_code_object_version 6
	.protected	fft_rtc_fwd_len728_factors_13_7_8_wgs_104_tpt_104_halfLds_half_ip_CI_unitstride_sbrr_R2C_dirReg ; -- Begin function fft_rtc_fwd_len728_factors_13_7_8_wgs_104_tpt_104_halfLds_half_ip_CI_unitstride_sbrr_R2C_dirReg
	.globl	fft_rtc_fwd_len728_factors_13_7_8_wgs_104_tpt_104_halfLds_half_ip_CI_unitstride_sbrr_R2C_dirReg
	.p2align	8
	.type	fft_rtc_fwd_len728_factors_13_7_8_wgs_104_tpt_104_halfLds_half_ip_CI_unitstride_sbrr_R2C_dirReg,@function
fft_rtc_fwd_len728_factors_13_7_8_wgs_104_tpt_104_halfLds_half_ip_CI_unitstride_sbrr_R2C_dirReg: ; @fft_rtc_fwd_len728_factors_13_7_8_wgs_104_tpt_104_halfLds_half_ip_CI_unitstride_sbrr_R2C_dirReg
; %bb.0:
	s_clause 0x2
	s_load_dwordx4 s[8:11], s[4:5], 0x0
	s_load_dwordx2 s[2:3], s[4:5], 0x50
	s_load_dwordx2 s[12:13], s[4:5], 0x18
	v_mul_u32_u24_e32 v1, 0x277, v0
	v_mov_b32_e32 v3, 0
	v_add_nc_u32_sdwa v5, s6, v1 dst_sel:DWORD dst_unused:UNUSED_PAD src0_sel:DWORD src1_sel:WORD_1
	v_mov_b32_e32 v1, 0
	v_mov_b32_e32 v6, v3
	v_mov_b32_e32 v2, 0
	s_waitcnt lgkmcnt(0)
	v_cmp_lt_u64_e64 s0, s[10:11], 2
	s_and_b32 vcc_lo, exec_lo, s0
	s_cbranch_vccnz .LBB0_8
; %bb.1:
	s_load_dwordx2 s[0:1], s[4:5], 0x10
	v_mov_b32_e32 v1, 0
	s_add_u32 s6, s12, 8
	v_mov_b32_e32 v2, 0
	s_addc_u32 s7, s13, 0
	s_mov_b64 s[16:17], 1
	s_waitcnt lgkmcnt(0)
	s_add_u32 s14, s0, 8
	s_addc_u32 s15, s1, 0
.LBB0_2:                                ; =>This Inner Loop Header: Depth=1
	s_load_dwordx2 s[18:19], s[14:15], 0x0
                                        ; implicit-def: $vgpr7_vgpr8
	s_mov_b32 s0, exec_lo
	s_waitcnt lgkmcnt(0)
	v_or_b32_e32 v4, s19, v6
	v_cmpx_ne_u64_e32 0, v[3:4]
	s_xor_b32 s1, exec_lo, s0
	s_cbranch_execz .LBB0_4
; %bb.3:                                ;   in Loop: Header=BB0_2 Depth=1
	v_cvt_f32_u32_e32 v4, s18
	v_cvt_f32_u32_e32 v7, s19
	s_sub_u32 s0, 0, s18
	s_subb_u32 s20, 0, s19
	v_fmac_f32_e32 v4, 0x4f800000, v7
	v_rcp_f32_e32 v4, v4
	v_mul_f32_e32 v4, 0x5f7ffffc, v4
	v_mul_f32_e32 v7, 0x2f800000, v4
	v_trunc_f32_e32 v7, v7
	v_fmac_f32_e32 v4, 0xcf800000, v7
	v_cvt_u32_f32_e32 v7, v7
	v_cvt_u32_f32_e32 v4, v4
	v_mul_lo_u32 v8, s0, v7
	v_mul_hi_u32 v9, s0, v4
	v_mul_lo_u32 v10, s20, v4
	v_add_nc_u32_e32 v8, v9, v8
	v_mul_lo_u32 v9, s0, v4
	v_add_nc_u32_e32 v8, v8, v10
	v_mul_hi_u32 v10, v4, v9
	v_mul_lo_u32 v11, v4, v8
	v_mul_hi_u32 v12, v4, v8
	v_mul_hi_u32 v13, v7, v9
	v_mul_lo_u32 v9, v7, v9
	v_mul_hi_u32 v14, v7, v8
	v_mul_lo_u32 v8, v7, v8
	v_add_co_u32 v10, vcc_lo, v10, v11
	v_add_co_ci_u32_e32 v11, vcc_lo, 0, v12, vcc_lo
	v_add_co_u32 v9, vcc_lo, v10, v9
	v_add_co_ci_u32_e32 v9, vcc_lo, v11, v13, vcc_lo
	v_add_co_ci_u32_e32 v10, vcc_lo, 0, v14, vcc_lo
	v_add_co_u32 v8, vcc_lo, v9, v8
	v_add_co_ci_u32_e32 v9, vcc_lo, 0, v10, vcc_lo
	v_add_co_u32 v4, vcc_lo, v4, v8
	v_add_co_ci_u32_e32 v7, vcc_lo, v7, v9, vcc_lo
	v_mul_hi_u32 v8, s0, v4
	v_mul_lo_u32 v10, s20, v4
	v_mul_lo_u32 v9, s0, v7
	v_add_nc_u32_e32 v8, v8, v9
	v_mul_lo_u32 v9, s0, v4
	v_add_nc_u32_e32 v8, v8, v10
	v_mul_hi_u32 v10, v4, v9
	v_mul_lo_u32 v11, v4, v8
	v_mul_hi_u32 v12, v4, v8
	v_mul_hi_u32 v13, v7, v9
	v_mul_lo_u32 v9, v7, v9
	v_mul_hi_u32 v14, v7, v8
	v_mul_lo_u32 v8, v7, v8
	v_add_co_u32 v10, vcc_lo, v10, v11
	v_add_co_ci_u32_e32 v11, vcc_lo, 0, v12, vcc_lo
	v_add_co_u32 v9, vcc_lo, v10, v9
	v_add_co_ci_u32_e32 v9, vcc_lo, v11, v13, vcc_lo
	v_add_co_ci_u32_e32 v10, vcc_lo, 0, v14, vcc_lo
	v_add_co_u32 v8, vcc_lo, v9, v8
	v_add_co_ci_u32_e32 v9, vcc_lo, 0, v10, vcc_lo
	v_add_co_u32 v4, vcc_lo, v4, v8
	v_add_co_ci_u32_e32 v11, vcc_lo, v7, v9, vcc_lo
	v_mul_hi_u32 v13, v5, v4
	v_mad_u64_u32 v[9:10], null, v6, v4, 0
	v_mad_u64_u32 v[7:8], null, v5, v11, 0
	;; [unrolled: 1-line block ×3, first 2 shown]
	v_add_co_u32 v4, vcc_lo, v13, v7
	v_add_co_ci_u32_e32 v7, vcc_lo, 0, v8, vcc_lo
	v_add_co_u32 v4, vcc_lo, v4, v9
	v_add_co_ci_u32_e32 v4, vcc_lo, v7, v10, vcc_lo
	v_add_co_ci_u32_e32 v7, vcc_lo, 0, v12, vcc_lo
	v_add_co_u32 v4, vcc_lo, v4, v11
	v_add_co_ci_u32_e32 v9, vcc_lo, 0, v7, vcc_lo
	v_mul_lo_u32 v10, s19, v4
	v_mad_u64_u32 v[7:8], null, s18, v4, 0
	v_mul_lo_u32 v11, s18, v9
	v_sub_co_u32 v7, vcc_lo, v5, v7
	v_add3_u32 v8, v8, v11, v10
	v_sub_nc_u32_e32 v10, v6, v8
	v_subrev_co_ci_u32_e64 v10, s0, s19, v10, vcc_lo
	v_add_co_u32 v11, s0, v4, 2
	v_add_co_ci_u32_e64 v12, s0, 0, v9, s0
	v_sub_co_u32 v13, s0, v7, s18
	v_sub_co_ci_u32_e32 v8, vcc_lo, v6, v8, vcc_lo
	v_subrev_co_ci_u32_e64 v10, s0, 0, v10, s0
	v_cmp_le_u32_e32 vcc_lo, s18, v13
	v_cmp_eq_u32_e64 s0, s19, v8
	v_cndmask_b32_e64 v13, 0, -1, vcc_lo
	v_cmp_le_u32_e32 vcc_lo, s19, v10
	v_cndmask_b32_e64 v14, 0, -1, vcc_lo
	v_cmp_le_u32_e32 vcc_lo, s18, v7
	;; [unrolled: 2-line block ×3, first 2 shown]
	v_cndmask_b32_e64 v15, 0, -1, vcc_lo
	v_cmp_eq_u32_e32 vcc_lo, s19, v10
	v_cndmask_b32_e64 v7, v15, v7, s0
	v_cndmask_b32_e32 v10, v14, v13, vcc_lo
	v_add_co_u32 v13, vcc_lo, v4, 1
	v_add_co_ci_u32_e32 v14, vcc_lo, 0, v9, vcc_lo
	v_cmp_ne_u32_e32 vcc_lo, 0, v10
	v_cndmask_b32_e32 v8, v14, v12, vcc_lo
	v_cndmask_b32_e32 v10, v13, v11, vcc_lo
	v_cmp_ne_u32_e32 vcc_lo, 0, v7
	v_cndmask_b32_e32 v8, v9, v8, vcc_lo
	v_cndmask_b32_e32 v7, v4, v10, vcc_lo
.LBB0_4:                                ;   in Loop: Header=BB0_2 Depth=1
	s_andn2_saveexec_b32 s0, s1
	s_cbranch_execz .LBB0_6
; %bb.5:                                ;   in Loop: Header=BB0_2 Depth=1
	v_cvt_f32_u32_e32 v4, s18
	s_sub_i32 s1, 0, s18
	v_rcp_iflag_f32_e32 v4, v4
	v_mul_f32_e32 v4, 0x4f7ffffe, v4
	v_cvt_u32_f32_e32 v4, v4
	v_mul_lo_u32 v7, s1, v4
	v_mul_hi_u32 v7, v4, v7
	v_add_nc_u32_e32 v4, v4, v7
	v_mul_hi_u32 v4, v5, v4
	v_mul_lo_u32 v7, v4, s18
	v_add_nc_u32_e32 v8, 1, v4
	v_sub_nc_u32_e32 v7, v5, v7
	v_subrev_nc_u32_e32 v9, s18, v7
	v_cmp_le_u32_e32 vcc_lo, s18, v7
	v_cndmask_b32_e32 v7, v7, v9, vcc_lo
	v_cndmask_b32_e32 v4, v4, v8, vcc_lo
	v_cmp_le_u32_e32 vcc_lo, s18, v7
	v_add_nc_u32_e32 v8, 1, v4
	v_cndmask_b32_e32 v7, v4, v8, vcc_lo
	v_mov_b32_e32 v8, v3
.LBB0_6:                                ;   in Loop: Header=BB0_2 Depth=1
	s_or_b32 exec_lo, exec_lo, s0
	s_load_dwordx2 s[0:1], s[6:7], 0x0
	v_mul_lo_u32 v4, v8, s18
	v_mul_lo_u32 v11, v7, s19
	v_mad_u64_u32 v[9:10], null, v7, s18, 0
	s_add_u32 s16, s16, 1
	s_addc_u32 s17, s17, 0
	s_add_u32 s6, s6, 8
	s_addc_u32 s7, s7, 0
	;; [unrolled: 2-line block ×3, first 2 shown]
	v_add3_u32 v4, v10, v11, v4
	v_sub_co_u32 v5, vcc_lo, v5, v9
	v_sub_co_ci_u32_e32 v4, vcc_lo, v6, v4, vcc_lo
	s_waitcnt lgkmcnt(0)
	v_mul_lo_u32 v6, s1, v5
	v_mul_lo_u32 v4, s0, v4
	v_mad_u64_u32 v[1:2], null, s0, v5, v[1:2]
	v_cmp_ge_u64_e64 s0, s[16:17], s[10:11]
	s_and_b32 vcc_lo, exec_lo, s0
	v_add3_u32 v2, v6, v2, v4
	s_cbranch_vccnz .LBB0_9
; %bb.7:                                ;   in Loop: Header=BB0_2 Depth=1
	v_mov_b32_e32 v5, v7
	v_mov_b32_e32 v6, v8
	s_branch .LBB0_2
.LBB0_8:
	v_mov_b32_e32 v8, v6
	v_mov_b32_e32 v7, v5
.LBB0_9:
	s_lshl_b64 s[0:1], s[10:11], 3
	v_mul_hi_u32 v3, 0x2762763, v0
	s_add_u32 s0, s12, s0
	s_addc_u32 s1, s13, s1
	s_load_dwordx2 s[0:1], s[0:1], 0x0
	s_load_dwordx2 s[4:5], s[4:5], 0x20
	v_mul_u32_u24_e32 v3, 0x68, v3
	v_sub_nc_u32_e32 v0, v0, v3
	v_lshl_add_u32 v18, v0, 2, 0
	s_waitcnt lgkmcnt(0)
	v_mul_lo_u32 v4, s0, v8
	v_mul_lo_u32 v5, s1, v7
	v_mad_u64_u32 v[1:2], null, s0, v7, v[1:2]
	v_cmp_gt_u64_e32 vcc_lo, s[4:5], v[7:8]
	v_add3_u32 v2, v5, v2, v4
	v_lshlrev_b64 v[2:3], 2, v[1:2]
	s_and_saveexec_b32 s1, vcc_lo
	s_cbranch_execz .LBB0_11
; %bb.10:
	v_mov_b32_e32 v1, 0
	v_add_nc_u32_e32 v11, 0x600, v18
	v_lshlrev_b64 v[4:5], 2, v[0:1]
	v_add_co_u32 v1, s0, s2, v2
	v_add_co_ci_u32_e64 v6, s0, s3, v3, s0
	v_add_co_u32 v4, s0, v1, v4
	v_add_co_ci_u32_e64 v5, s0, v6, v5, s0
	;; [unrolled: 2-line block ×3, first 2 shown]
	s_clause 0x6
	global_load_dword v1, v[4:5], off
	global_load_dword v8, v[4:5], off offset:416
	global_load_dword v9, v[4:5], off offset:832
	;; [unrolled: 1-line block ×6, first 2 shown]
	v_add_nc_u32_e32 v7, 0x200, v18
	s_waitcnt vmcnt(5)
	ds_write2_b32 v18, v1, v8 offset1:104
	s_waitcnt vmcnt(3)
	ds_write2_b32 v7, v9, v10 offset0:80 offset1:184
	s_waitcnt vmcnt(1)
	ds_write2_b32 v11, v4, v5 offset0:32 offset1:136
	s_waitcnt vmcnt(0)
	ds_write_b32 v18, v6 offset:2496
.LBB0_11:
	s_or_b32 exec_lo, exec_lo, s1
	s_waitcnt lgkmcnt(0)
	s_barrier
	buffer_gl0_inv
	ds_read2_b32 v[16:17], v18 offset0:112 offset1:168
	ds_read_b32 v19, v18 offset:2688
	ds_read2_b32 v[8:9], v18 offset1:56
	v_add_nc_u32_e32 v1, 0x800, v18
	v_add_nc_u32_e32 v4, 0x200, v18
	;; [unrolled: 1-line block ×3, first 2 shown]
	ds_read2_b32 v[6:7], v1 offset0:48 offset1:104
	ds_read2_b32 v[14:15], v4 offset0:96 offset1:152
	ds_read2_b32 v[10:11], v5 offset0:192 offset1:248
	ds_read2_b32 v[12:13], v5 offset0:80 offset1:136
	s_mov_b32 s1, exec_lo
	s_waitcnt lgkmcnt(0)
	s_barrier
	buffer_gl0_inv
	v_pk_add_f16 v29, v9, v19 neg_lo:[0,1] neg_hi:[0,1]
	v_pk_add_f16 v28, v19, v9
	v_pk_add_f16 v30, v16, v7 neg_lo:[0,1] neg_hi:[0,1]
	v_pk_add_f16 v25, v7, v16
	v_pk_mul_f16 v1, 0xb3a8, v29 op_sel_hi:[0,1]
	v_pk_add_f16 v31, v17, v6 neg_lo:[0,1] neg_hi:[0,1]
	v_pk_add_f16 v24, v6, v17
	v_pk_mul_f16 v5, 0x3770, v30 op_sel_hi:[0,1]
	v_pk_add_f16 v26, v14, v11 neg_lo:[0,1] neg_hi:[0,1]
	v_pk_fma_f16 v32, 0xbbc4, v28, v1 op_sel:[0,0,1] op_sel_hi:[0,1,0]
	v_pk_fma_f16 v37, 0xbbc4, v28, v1 op_sel:[0,0,1] op_sel_hi:[0,1,0] neg_lo:[0,0,1] neg_hi:[0,0,1]
	v_pk_mul_f16 v1, 0xb94e, v31 op_sel_hi:[0,1]
	v_pk_fma_f16 v33, 0x3b15, v25, v5 op_sel:[0,0,1] op_sel_hi:[0,1,0]
	v_pk_fma_f16 v34, 0x3b15, v25, v5 op_sel:[0,0,1] op_sel_hi:[0,1,0] neg_lo:[0,0,1] neg_hi:[0,0,1]
	v_add_f16_e32 v5, v8, v32
	v_add_f16_sdwa v35, v8, v37 dst_sel:DWORD dst_unused:UNUSED_PAD src0_sel:WORD_1 src1_sel:WORD_1
	v_pk_add_f16 v23, v11, v14
	v_pk_add_f16 v27, v15, v10 neg_lo:[0,1] neg_hi:[0,1]
	v_pk_mul_f16 v36, 0x3a95, v26 op_sel_hi:[0,1]
	v_pk_fma_f16 v42, 0xb9fd, v24, v1 op_sel:[0,0,1] op_sel_hi:[0,1,0]
	v_pk_fma_f16 v43, 0xb9fd, v24, v1 op_sel:[0,0,1] op_sel_hi:[0,1,0] neg_lo:[0,0,1] neg_hi:[0,0,1]
	v_add_f16_e32 v1, v33, v5
	v_add_f16_sdwa v5, v34, v35 dst_sel:DWORD dst_unused:UNUSED_PAD src0_sel:WORD_1 src1_sel:DWORD
	v_pk_add_f16 v22, v10, v15
	v_pk_add_f16 v21, v12, v13 neg_lo:[0,1] neg_hi:[0,1]
	v_pk_mul_f16 v38, 0xbb7b, v27 op_sel_hi:[0,1]
	v_pk_fma_f16 v35, 0x388b, v23, v36 op_sel:[0,0,1] op_sel_hi:[0,1,0]
	v_pk_fma_f16 v41, 0x388b, v23, v36 op_sel:[0,0,1] op_sel_hi:[0,1,0] neg_lo:[0,0,1] neg_hi:[0,0,1]
	v_add_f16_e32 v1, v42, v1
	v_add_f16_sdwa v5, v43, v5 dst_sel:DWORD dst_unused:UNUSED_PAD src0_sel:WORD_1 src1_sel:DWORD
	v_pk_add_f16 v20, v13, v12
	v_pk_mul_f16 v39, 0x3bf1, v21 op_sel_hi:[0,1]
	v_pk_fma_f16 v36, 0xb5ac, v22, v38 op_sel:[0,0,1] op_sel_hi:[0,1,0]
	v_pk_fma_f16 v48, 0xb5ac, v22, v38 op_sel:[0,0,1] op_sel_hi:[0,1,0] neg_lo:[0,0,1] neg_hi:[0,0,1]
	v_add_f16_e32 v1, v35, v1
	v_add_f16_sdwa v5, v41, v5 dst_sel:DWORD dst_unused:UNUSED_PAD src0_sel:WORD_1 src1_sel:DWORD
	v_pk_fma_f16 v50, 0x2fb7, v20, v39 op_sel:[0,0,1] op_sel_hi:[0,1,0]
	v_pk_fma_f16 v51, 0x2fb7, v20, v39 op_sel:[0,0,1] op_sel_hi:[0,1,0] neg_lo:[0,0,1] neg_hi:[0,0,1]
	v_add_f16_e32 v1, v36, v1
	v_add_f16_sdwa v38, v48, v5 dst_sel:DWORD dst_unused:UNUSED_PAD src0_sel:WORD_1 src1_sel:DWORD
	v_add_f16_e32 v5, v50, v1
	v_add_f16_sdwa v1, v51, v38 dst_sel:DWORD dst_unused:UNUSED_PAD src0_sel:WORD_1 src1_sel:DWORD
	v_cmpx_gt_u32_e32 56, v0
	s_cbranch_execz .LBB0_13
; %bb.12:
	v_mul_f16_e32 v47, 0xb94e, v29
	v_lshrrev_b32_e32 v40, 16, v28
	v_bfi_b32 v32, 0xffff, v37, v32
	v_mul_f16_e32 v44, 0x3bf1, v30
	v_lshrrev_b32_e32 v39, 16, v25
	v_mul_f16_e32 v45, 0xba95, v31
	v_fmamk_f16 v37, v40, 0xb9fd, v47
	v_lshrrev_b32_e32 v38, 16, v24
	v_bfi_b32 v33, 0xffff, v34, v33
	v_fmamk_f16 v46, v39, 0x2fb7, v44
	v_bfi_b32 v34, 0xffff, v43, v42
	v_add_f16_sdwa v49, v8, v37 dst_sel:DWORD dst_unused:UNUSED_PAD src0_sel:WORD_1 src1_sel:DWORD
	v_mul_f16_e32 v43, 0x33a8, v26
	v_lshrrev_b32_e32 v37, 16, v23
	v_fmamk_f16 v52, v38, 0x388b, v45
	v_mov_b32_e32 v54, 0x3bf1
	v_add_f16_e32 v46, v46, v49
	v_mov_b32_e32 v49, 0xb94e
	v_fmamk_f16 v53, v37, 0xbbc4, v43
	v_bfi_b32 v35, 0xffff, v41, v35
	v_mul_f16_e32 v42, 0x3770, v27
	v_add_f16_e32 v52, v52, v46
	v_mul_f16_sdwa v46, v29, v49 dst_sel:DWORD dst_unused:UNUSED_PAD src0_sel:WORD_1 src1_sel:DWORD
	v_lshrrev_b32_e32 v41, 16, v22
	v_bfi_b32 v36, 0xffff, v48, v36
	v_mul_f16_sdwa v48, v30, v54 dst_sel:DWORD dst_unused:UNUSED_PAD src0_sel:WORD_1 src1_sel:DWORD
	v_add_f16_e32 v52, v53, v52
	v_fma_f16 v53, v28, 0xb9fd, -v46
	v_fmamk_f16 v54, v41, 0x3b15, v42
	v_pk_add_f16 v9, v8, v9
	v_mov_b32_e32 v55, 0xba95
	v_fma_f16 v56, v25, 0x2fb7, -v48
	v_add_f16_e32 v53, v8, v53
	v_mul_f16_e32 v57, 0xbb7b, v21
	v_pk_add_f16 v9, v9, v16
	v_mul_f16_sdwa v16, v31, v55 dst_sel:DWORD dst_unused:UNUSED_PAD src0_sel:WORD_1 src1_sel:DWORD
	v_mov_b32_e32 v58, 0x33a8
	v_add_f16_e32 v53, v56, v53
	v_lshrrev_b32_e32 v56, 16, v20
	v_add_f16_e32 v52, v54, v52
	v_mul_f16_e32 v54, 0xbb7b, v29
	v_pk_add_f16 v9, v9, v17
	v_fma_f16 v17, v24, 0x388b, -v16
	v_mul_f16_sdwa v59, v26, v58 dst_sel:DWORD dst_unused:UNUSED_PAD src0_sel:WORD_1 src1_sel:DWORD
	v_fmamk_f16 v60, v56, 0xb5ac, v57
	v_mov_b32_e32 v61, 0x3770
	v_fmamk_f16 v62, v40, 0xb5ac, v54
	v_mul_f16_e32 v63, 0x394e, v30
	v_add_f16_e32 v17, v17, v53
	v_fma_f16 v53, v23, 0xbbc4, -v59
	v_bfi_b32 v50, 0xffff, v51, v50
	v_add_f16_e32 v51, v60, v52
	v_mul_f16_sdwa v52, v27, v61 dst_sel:DWORD dst_unused:UNUSED_PAD src0_sel:WORD_1 src1_sel:DWORD
	v_add_f16_sdwa v60, v8, v62 dst_sel:DWORD dst_unused:UNUSED_PAD src0_sel:WORD_1 src1_sel:DWORD
	v_fmamk_f16 v62, v39, 0xb9fd, v63
	v_mul_f16_e32 v64, 0x3770, v31
	v_add_f16_e32 v17, v53, v17
	v_mov_b32_e32 v53, 0xbb7b
	v_fma_f16 v65, v22, 0x3b15, -v52
	v_add_f16_e32 v60, v62, v60
	v_fmamk_f16 v62, v38, 0x3b15, v64
	v_mul_f16_e32 v66, 0xbbf1, v26
	v_pk_add_f16 v9, v9, v14
	v_mul_f16_sdwa v14, v21, v53 dst_sel:DWORD dst_unused:UNUSED_PAD src0_sel:WORD_1 src1_sel:DWORD
	v_add_f16_e32 v17, v65, v17
	v_add_f16_e32 v60, v62, v60
	v_fmamk_f16 v62, v37, 0x2fb7, v66
	v_mul_f16_sdwa v65, v29, v53 dst_sel:DWORD dst_unused:UNUSED_PAD src0_sel:WORD_1 src1_sel:DWORD
	v_mov_b32_e32 v67, 0x394e
	v_mul_f16_e32 v68, 0x33a8, v27
	v_fma_f16 v69, v20, 0xb5ac, -v14
	v_add_f16_e32 v60, v62, v60
	v_fma_f16 v62, v28, 0xb5ac, -v65
	v_mul_f16_sdwa v67, v30, v67 dst_sel:DWORD dst_unused:UNUSED_PAD src0_sel:WORD_1 src1_sel:DWORD
	v_fmamk_f16 v70, v41, 0xbbc4, v68
	v_fma_f16 v47, v40, 0xb9fd, -v47
	v_pk_add_f16 v9, v9, v15
	v_add_f16_e32 v15, v69, v17
	v_add_f16_e32 v17, v8, v62
	v_fma_f16 v62, v25, 0xb9fd, -v67
	v_add_f16_e32 v60, v70, v60
	v_mul_f16_sdwa v69, v31, v61 dst_sel:DWORD dst_unused:UNUSED_PAD src0_sel:WORD_1 src1_sel:DWORD
	v_mul_f16_e32 v70, 0xbbf1, v29
	v_add_f16_sdwa v47, v8, v47 dst_sel:DWORD dst_unused:UNUSED_PAD src0_sel:WORD_1 src1_sel:DWORD
	v_fma_f16 v44, v39, 0x2fb7, -v44
	v_add_f16_e32 v17, v62, v17
	v_mov_b32_e32 v62, 0xbbf1
	v_fma_f16 v72, v24, 0x3b15, -v69
	v_fmamk_f16 v73, v40, 0x2fb7, v70
	v_mul_f16_e32 v74, 0xb3a8, v30
	v_add_f16_e32 v44, v44, v47
	v_fma_f16 v45, v38, 0x388b, -v45
	v_mul_f16_sdwa v76, v26, v62 dst_sel:DWORD dst_unused:UNUSED_PAD src0_sel:WORD_1 src1_sel:DWORD
	v_add_f16_e32 v17, v72, v17
	v_add_f16_sdwa v72, v8, v73 dst_sel:DWORD dst_unused:UNUSED_PAD src0_sel:WORD_1 src1_sel:DWORD
	v_fmamk_f16 v73, v39, 0xbbc4, v74
	v_mul_f16_e32 v77, 0x3b7b, v31
	v_fmac_f16_e32 v46, 0xb9fd, v28
	v_add_f16_e32 v44, v45, v44
	v_fma_f16 v43, v37, 0xbbc4, -v43
	v_fma_f16 v45, v40, 0xb5ac, -v54
	;; [unrolled: 1-line block ×3, first 2 shown]
	v_mul_f16_sdwa v58, v27, v58 dst_sel:DWORD dst_unused:UNUSED_PAD src0_sel:WORD_1 src1_sel:DWORD
	v_mov_b32_e32 v79, 0x3a95
	v_add_f16_e32 v72, v73, v72
	v_fmamk_f16 v73, v38, 0xb5ac, v77
	v_mul_f16_e32 v80, 0x3770, v26
	v_add_f16_e32 v46, v8, v46
	v_fmac_f16_e32 v48, 0x2fb7, v25
	v_add_f16_e32 v43, v43, v44
	v_add_f16_sdwa v44, v8, v45 dst_sel:DWORD dst_unused:UNUSED_PAD src0_sel:WORD_1 src1_sel:DWORD
	v_fma_f16 v45, v39, 0xb9fd, -v63
	v_add_f16_e32 v17, v78, v17
	v_fma_f16 v78, v22, 0xbbc4, -v58
	v_mul_f16_sdwa v79, v21, v79 dst_sel:DWORD dst_unused:UNUSED_PAD src0_sel:WORD_1 src1_sel:DWORD
	v_add_f16_e32 v72, v73, v72
	v_fmamk_f16 v73, v37, 0x3b15, v80
	v_mul_f16_e32 v83, 0xba95, v27
	v_add_f16_e32 v46, v48, v46
	v_fmac_f16_e32 v16, 0x388b, v24
	v_fmac_f16_e32 v65, 0xb5ac, v28
	v_add_f16_e32 v44, v45, v44
	v_fma_f16 v45, v38, 0x3b15, -v64
	v_add_f16_e32 v17, v78, v17
	v_fma_f16 v85, v20, 0x388b, -v79
	v_add_f16_e32 v72, v73, v72
	v_fmamk_f16 v86, v41, 0x388b, v83
	v_mul_f16_e32 v87, 0xb9fd, v56
	v_fma_f16 v42, v41, 0x3b15, -v42
	v_add_f16_e32 v16, v16, v46
	v_fmac_f16_e32 v59, 0xbbc4, v23
	v_add_f16_e32 v46, v8, v65
	v_fmac_f16_e32 v67, 0xb9fd, v25
	v_add_f16_e32 v44, v45, v44
	v_fma_f16 v45, v37, 0x2fb7, -v66
	v_mul_f16_e32 v71, 0x3a95, v21
	v_add_f16_e32 v17, v85, v17
	v_add_f16_e32 v72, v86, v72
	v_mul_f16_e32 v85, 0xba95, v29
	v_fmamk_f16 v86, v21, 0xb94e, v87
	v_add_f16_e32 v42, v42, v43
	v_add_f16_e32 v16, v59, v16
	;; [unrolled: 1-line block ×4, first 2 shown]
	v_fmac_f16_e32 v52, 0x3b15, v22
	v_fma_f16 v46, v41, 0xbbc4, -v68
	v_fmamk_f16 v75, v56, 0x388b, v71
	v_mul_f16_sdwa v81, v29, v62 dst_sel:DWORD dst_unused:UNUSED_PAD src0_sel:WORD_1 src1_sel:DWORD
	v_mov_b32_e32 v82, 0xb3a8
	v_fmamk_f16 v89, v40, 0x388b, v85
	v_add_f16_e32 v72, v86, v72
	v_mul_f16_e32 v86, 0xbb7b, v30
	v_add_f16_e32 v16, v52, v16
	v_fmac_f16_e32 v14, 0xb5ac, v20
	v_add_f16_e32 v44, v46, v44
	v_fma_f16 v46, v56, 0x388b, -v71
	v_add_f16_e32 v60, v75, v60
	v_fma_f16 v75, v28, 0x2fb7, -v81
	v_mul_f16_sdwa v78, v30, v82 dst_sel:DWORD dst_unused:UNUSED_PAD src0_sel:WORD_1 src1_sel:DWORD
	v_mov_b32_e32 v84, 0x3b7b
	v_add_f16_sdwa v89, v8, v89 dst_sel:DWORD dst_unused:UNUSED_PAD src0_sel:WORD_1 src1_sel:DWORD
	v_fmamk_f16 v91, v39, 0xb5ac, v86
	v_mul_f16_e32 v92, 0xb3a8, v31
	v_fma_f16 v45, v56, 0xb5ac, -v57
	v_add_f16_e32 v14, v14, v16
	v_add_f16_e32 v16, v46, v44
	v_fmac_f16_e32 v81, 0x2fb7, v28
	v_fma_f16 v44, v40, 0x388b, -v85
	v_add_f16_e32 v73, v8, v75
	v_fma_f16 v75, v25, 0xbbc4, -v78
	v_mul_f16_sdwa v84, v31, v84 dst_sel:DWORD dst_unused:UNUSED_PAD src0_sel:WORD_1 src1_sel:DWORD
	v_add_f16_e32 v89, v91, v89
	v_fmamk_f16 v91, v38, 0xbbc4, v92
	v_mul_f16_e32 v93, 0x394e, v26
	v_add_f16_e32 v42, v45, v42
	v_fma_f16 v40, v40, 0x2fb7, -v70
	v_add_f16_e32 v45, v8, v81
	v_fmac_f16_e32 v78, 0xbbc4, v25
	v_fma_f16 v46, v39, 0xb5ac, -v86
	v_add_f16_sdwa v44, v8, v44 dst_sel:DWORD dst_unused:UNUSED_PAD src0_sel:WORD_1 src1_sel:DWORD
	v_add_f16_e32 v73, v75, v73
	v_fma_f16 v75, v24, 0xb5ac, -v84
	v_mul_f16_sdwa v61, v26, v61 dst_sel:DWORD dst_unused:UNUSED_PAD src0_sel:WORD_1 src1_sel:DWORD
	v_add_f16_e32 v89, v91, v89
	v_fmamk_f16 v91, v37, 0xb9fd, v93
	v_mul_f16_e32 v96, 0x3bf1, v27
	v_add_f16_sdwa v40, v8, v40 dst_sel:DWORD dst_unused:UNUSED_PAD src0_sel:WORD_1 src1_sel:DWORD
	v_fma_f16 v39, v39, 0xbbc4, -v74
	v_add_f16_e32 v45, v78, v45
	v_fmac_f16_e32 v84, 0xb5ac, v24
	v_add_f16_e32 v44, v46, v44
	v_fma_f16 v46, v38, 0xbbc4, -v92
	v_add_f16_e32 v73, v75, v73
	v_fma_f16 v75, v23, 0x3b15, -v61
	v_mul_f16_sdwa v88, v27, v55 dst_sel:DWORD dst_unused:UNUSED_PAD src0_sel:WORD_1 src1_sel:DWORD
	v_add_f16_e32 v89, v91, v89
	v_fmamk_f16 v91, v41, 0x2fb7, v96
	v_add_f16_e32 v39, v39, v40
	v_fma_f16 v38, v38, 0xb5ac, -v77
	v_add_f16_e32 v40, v84, v45
	v_fmac_f16_e32 v61, 0x3b15, v23
	v_add_f16_e32 v44, v46, v44
	v_fma_f16 v45, v37, 0xb9fd, -v93
	v_add_f16_e32 v73, v75, v73
	v_fma_f16 v75, v22, 0x388b, -v88
	v_mov_b32_e32 v90, 0xb770
	v_add_f16_e32 v89, v91, v89
	v_mul_f16_e32 v91, 0x3770, v21
	v_add_f16_e32 v38, v38, v39
	v_fma_f16 v37, v37, 0x3b15, -v80
	v_add_f16_e32 v39, v61, v40
	v_fmac_f16_e32 v88, 0x388b, v22
	v_add_f16_e32 v40, v45, v44
	v_fma_f16 v44, v41, 0x2fb7, -v96
	v_mul_f16_sdwa v90, v29, v90 dst_sel:DWORD dst_unused:UNUSED_PAD src0_sel:WORD_1 src1_sel:DWORD
	v_add_f16_e32 v37, v37, v38
	v_add_f16_e32 v38, v88, v39
	;; [unrolled: 1-line block ×4, first 2 shown]
	v_fma_f16 v40, v56, 0x3b15, -v91
	v_pk_mul_f16 v44, 0x3b15388b, v28
	v_mul_f16_sdwa v75, v21, v49 dst_sel:DWORD dst_unused:UNUSED_PAD src0_sel:WORD_1 src1_sel:DWORD
	v_fma_f16 v95, v28, 0x3b15, -v90
	v_mul_f16_sdwa v55, v30, v55 dst_sel:DWORD dst_unused:UNUSED_PAD src0_sel:WORD_1 src1_sel:DWORD
	v_pk_mul_f16 v45, 0x388bb5ac, v25
	v_add_f16_e32 v39, v40, v39
	v_pk_mul_f16 v40, 0x2fb7bbc4, v24
	v_pk_fma_f16 v46, 0xba95b770, v29, v44 op_sel:[0,0,1] op_sel_hi:[1,1,0]
	v_fmac_f16_e32 v90, 0x3b15, v28
	v_pk_mul_f16 v28, 0xb5acb9fd, v23
	v_alignbit_b32 v48, v8, v8, 16
	v_fma_f16 v94, v20, 0xb9fd, -v75
	v_add_f16_e32 v95, v8, v95
	v_fma_f16 v97, v25, 0x388b, -v55
	v_mul_f16_sdwa v62, v31, v62 dst_sel:DWORD dst_unused:UNUSED_PAD src0_sel:WORD_1 src1_sel:DWORD
	v_mul_f16_sdwa v53, v26, v53 dst_sel:DWORD dst_unused:UNUSED_PAD src0_sel:WORD_1 src1_sel:DWORD
	v_pk_fma_f16 v29, 0xba95b770, v29, v44 op_sel:[0,0,1] op_sel_hi:[1,1,0] neg_lo:[0,1,0] neg_hi:[0,1,0]
	v_pk_fma_f16 v44, 0xbb7bba95, v30, v45 op_sel:[0,0,1] op_sel_hi:[1,1,0]
	v_pk_fma_f16 v30, 0xbb7bba95, v30, v45 op_sel:[0,0,1] op_sel_hi:[1,1,0] neg_lo:[0,1,0] neg_hi:[0,1,0]
	v_pk_fma_f16 v45, 0xb3a8bbf1, v31, v40 op_sel:[0,0,1] op_sel_hi:[1,1,0]
	v_pk_fma_f16 v31, 0xb3a8bbf1, v31, v40 op_sel:[0,0,1] op_sel_hi:[1,1,0] neg_lo:[0,1,0] neg_hi:[0,1,0]
	v_pk_mul_f16 v40, 0xb9fd2fb7, v22
	v_pk_fma_f16 v52, 0x394ebb7b, v26, v28 op_sel:[0,0,1] op_sel_hi:[1,1,0]
	v_pk_fma_f16 v26, 0x394ebb7b, v26, v28 op_sel:[0,0,1] op_sel_hi:[1,1,0] neg_lo:[0,1,0] neg_hi:[0,1,0]
	v_pk_add_f16 v28, v48, v46
	v_add_f16_e32 v73, v94, v73
	v_add_f16_e32 v94, v97, v95
	v_fma_f16 v95, v24, 0x2fb7, -v62
	v_mul_f16_sdwa v49, v27, v49 dst_sel:DWORD dst_unused:UNUSED_PAD src0_sel:WORD_1 src1_sel:DWORD
	v_fmamk_f16 v97, v56, 0x3b15, v91
	v_fmac_f16_e32 v69, 0x3b15, v24
	v_pk_fma_f16 v56, 0x3bf1b94e, v27, v40 op_sel:[0,0,1] op_sel_hi:[1,1,0]
	v_fmac_f16_e32 v62, 0x2fb7, v24
	v_pk_fma_f16 v24, 0x3bf1b94e, v27, v40 op_sel:[0,0,1] op_sel_hi:[1,1,0] neg_lo:[0,1,0] neg_hi:[0,1,0]
	v_pk_add_f16 v27, v44, v28
	v_add_f16_e32 v28, v48, v29
	v_bfi_b32 v29, 0xffff, v46, v29
	v_add_f16_e32 v94, v95, v94
	v_fma_f16 v95, v23, 0xb5ac, -v53
	v_fmac_f16_e32 v76, 0x2fb7, v23
	v_add_f16_e32 v28, v30, v28
	v_pk_add_f16 v29, v48, v29
	v_bfi_b32 v30, 0xffff, v44, v30
	v_fmac_f16_e32 v53, 0xb5ac, v23
	v_pk_add_f16 v9, v9, v12
	v_bfi_b32 v23, 0xffff, v45, v31
	v_pk_mul_f16 v46, 0xbbc43b15, v20
	v_pk_add_f16 v12, v30, v29
	v_add_f16_e32 v94, v95, v94
	v_pk_add_f16 v9, v9, v13
	v_bfi_b32 v13, 0xffff, v52, v26
	v_fma_f16 v95, v22, 0xb9fd, -v49
	v_pk_add_f16 v12, v23, v12
	v_fmac_f16_e32 v58, 0xbbc4, v22
	v_fmac_f16_e32 v55, 0x388b, v25
	v_add_f16_e32 v25, v8, v90
	v_pk_add_f16 v27, v45, v27
	v_add_f16_e32 v28, v31, v28
	v_fmac_f16_e32 v49, 0xb9fd, v22
	v_pk_fma_f16 v22, 0x3770b3a8, v21, v46 op_sel:[0,0,1] op_sel_hi:[1,1,0] neg_lo:[0,1,0] neg_hi:[0,1,0]
	v_pk_add_f16 v9, v9, v10
	v_pk_add_f16 v10, v13, v12
	v_bfi_b32 v12, 0xffff, v56, v24
	v_pk_fma_f16 v13, 0x3770b3a8, v21, v46 op_sel:[0,0,1] op_sel_hi:[1,1,0]
	v_pk_add_f16 v8, v8, v32
	v_mul_f16_sdwa v82, v21, v82 dst_sel:DWORD dst_unused:UNUSED_PAD src0_sel:WORD_1 src1_sel:DWORD
	v_mul_f16_e32 v40, 0xb94e, v21
	v_pk_add_f16 v27, v52, v27
	v_add_f16_e32 v28, v26, v28
	v_pk_add_f16 v9, v9, v11
	v_pk_add_f16 v10, v12, v10
	v_bfi_b32 v11, 0xffff, v13, v22
	v_pk_add_f16 v8, v33, v8
	v_add_f16_e32 v25, v55, v25
	v_add_f16_e32 v43, v69, v43
	;; [unrolled: 1-line block ×4, first 2 shown]
	v_fma_f16 v94, v20, 0xbbc4, -v82
	v_fma_f16 v41, v41, 0x388b, -v83
	v_pk_mul_f16 v44, 0x3770b3a8, v21
	v_add_f16_e32 v23, v24, v28
	v_pk_add_f16 v6, v9, v6
	v_pk_add_f16 v9, v11, v10
	;; [unrolled: 1-line block ×3, first 2 shown]
	v_bfi_b32 v11, 0xffff, v40, v27
	v_add_f16_e32 v25, v62, v25
	v_add_f16_e32 v43, v76, v43
	;; [unrolled: 1-line block ×3, first 2 shown]
	v_fmac_f16_e32 v79, 0x388b, v20
	v_fmac_f16_e32 v75, 0xb9fd, v20
	;; [unrolled: 1-line block ×3, first 2 shown]
	v_add_f16_e32 v12, v22, v23
	v_pk_add_f16 v8, v35, v8
	v_pk_add_f16 v11, v87, v11 neg_lo:[0,1] neg_hi:[0,1]
	v_pk_add_f16 v20, v56, v27
	v_pack_b32_f16 v21, v41, v46
	v_bfi_b32 v22, 0xffff, v37, v44
	v_add_f16_e32 v25, v53, v25
	v_add_f16_e32 v43, v58, v43
	v_mad_u32_u24 v10, v0, 48, v18
	v_pk_add_f16 v6, v6, v7
	v_alignbit_b32 v7, v47, v9, 16
	v_pack_b32_f16 v9, v54, v9
	v_pk_add_f16 v8, v36, v8
	v_bfi_b32 v11, 0xffff, v11, v20
	v_pk_add_f16 v20, v21, v22
	v_add_f16_e32 v25, v49, v25
	v_pack_b32_f16 v17, v17, v60
	v_pack_b32_f16 v23, v73, v72
	v_add_f16_e32 v43, v79, v43
	v_add_f16_e32 v38, v75, v38
	ds_write2_b32 v10, v9, v7 offset0:1 offset1:2
	ds_write2_b32 v10, v23, v17 offset0:3 offset1:4
	v_pk_add_f16 v7, v50, v8
	v_pk_add_f16 v8, v11, v20
	v_add_f16_e32 v13, v82, v25
	v_pack_b32_f16 v9, v15, v51
	v_pack_b32_f16 v11, v14, v42
	v_perm_b32 v14, v1, v5, 0x5040100
	v_pk_add_f16 v6, v6, v19
	v_pack_b32_f16 v15, v43, v16
	v_alignbit_b32 v16, v39, v8, 16
	v_pack_b32_f16 v8, v38, v8
	v_pack_b32_f16 v12, v13, v12
	ds_write2_b32 v10, v9, v7 offset0:5 offset1:6
	ds_write2_b32 v10, v14, v11 offset0:7 offset1:8
	ds_write2_b32 v10, v6, v15 offset1:9
	ds_write2_b32 v10, v8, v16 offset0:10 offset1:11
	ds_write_b32 v10, v12 offset:48
.LBB0_13:
	s_or_b32 exec_lo, exec_lo, s1
	v_and_b32_e32 v6, 0xff, v0
	v_mov_b32_e32 v7, 6
	s_waitcnt lgkmcnt(0)
	s_barrier
	buffer_gl0_inv
	v_mul_lo_u16 v6, 0x4f, v6
	v_add_nc_u32_e32 v16, 0x600, v18
	v_mov_b32_e32 v21, 0x16c
	v_mov_b32_e32 v22, 2
	v_cmp_gt_u32_e64 s0, 0x5b, v0
	v_lshrrev_b16 v19, 10, v6
	v_mul_lo_u16 v6, v19, 13
	v_mul_u32_u24_sdwa v19, v19, v21 dst_sel:DWORD dst_unused:UNUSED_PAD src0_sel:WORD_0 src1_sel:DWORD
	v_sub_nc_u16 v20, v0, v6
	v_mul_u32_u24_sdwa v6, v20, v7 dst_sel:DWORD dst_unused:UNUSED_PAD src0_sel:BYTE_0 src1_sel:DWORD
	v_lshlrev_b32_sdwa v20, v22, v20 dst_sel:DWORD dst_unused:UNUSED_PAD src0_sel:DWORD src1_sel:BYTE_0
	v_lshlrev_b32_e32 v10, 2, v6
	v_add3_u32 v20, 0, v19, v20
	s_clause 0x1
	global_load_dwordx4 v[6:9], v10, s[8:9]
	global_load_dwordx2 v[10:11], v10, s[8:9] offset:16
	ds_read2_b32 v[12:13], v18 offset1:104
	ds_read2_b32 v[14:15], v4 offset0:80 offset1:184
	ds_read_b32 v4, v18 offset:2496
	ds_read2_b32 v[16:17], v16 offset0:32 offset1:136
	s_waitcnt vmcnt(0) lgkmcnt(0)
	s_barrier
	buffer_gl0_inv
	v_lshrrev_b32_e32 v23, 16, v14
	v_lshrrev_b32_e32 v21, 16, v13
	;; [unrolled: 1-line block ×6, first 2 shown]
	v_mul_f16_sdwa v19, v6, v21 dst_sel:DWORD dst_unused:UNUSED_PAD src0_sel:WORD_1 src1_sel:DWORD
	v_mul_f16_sdwa v27, v6, v13 dst_sel:DWORD dst_unused:UNUSED_PAD src0_sel:WORD_1 src1_sel:DWORD
	;; [unrolled: 1-line block ×12, first 2 shown]
	v_fma_f16 v13, v6, v13, -v19
	v_fmac_f16_e32 v27, v6, v21
	v_fma_f16 v6, v7, v14, -v28
	v_fmac_f16_e32 v29, v7, v23
	;; [unrolled: 2-line block ×3, first 2 shown]
	v_fma_f16 v8, v9, v16, -v32
	v_fma_f16 v4, v11, v4, -v36
	v_fmac_f16_e32 v37, v11, v24
	v_fmac_f16_e32 v33, v9, v25
	v_fma_f16 v9, v10, v17, -v34
	v_fmac_f16_e32 v35, v10, v26
	v_add_f16_e32 v10, v13, v4
	v_add_f16_e32 v11, v27, v37
	v_sub_f16_e32 v4, v13, v4
	v_add_f16_e32 v14, v6, v9
	v_add_f16_e32 v15, v29, v35
	v_sub_f16_e32 v13, v27, v37
	v_sub_f16_e32 v6, v6, v9
	;; [unrolled: 1-line block ×3, first 2 shown]
	v_add_f16_e32 v16, v7, v8
	v_add_f16_e32 v17, v31, v33
	v_sub_f16_e32 v7, v8, v7
	v_sub_f16_e32 v8, v33, v31
	v_add_f16_e32 v19, v14, v10
	v_add_f16_e32 v21, v15, v11
	v_sub_f16_e32 v22, v14, v10
	v_sub_f16_e32 v23, v15, v11
	;; [unrolled: 1-line block ×6, first 2 shown]
	v_add_f16_e32 v24, v7, v6
	v_add_f16_e32 v25, v8, v9
	v_sub_f16_e32 v26, v7, v6
	v_sub_f16_e32 v27, v8, v9
	;; [unrolled: 1-line block ×4, first 2 shown]
	v_add_f16_e32 v16, v16, v19
	v_add_f16_e32 v17, v17, v21
	v_sub_f16_e32 v7, v4, v7
	v_sub_f16_e32 v8, v13, v8
	v_add_f16_e32 v4, v24, v4
	v_add_f16_e32 v13, v25, v13
	v_mul_f16_e32 v10, 0x3a52, v10
	v_mul_f16_e32 v11, 0x3a52, v11
	;; [unrolled: 1-line block ×8, first 2 shown]
	v_add_f16_e32 v6, v16, v12
	v_add_f16_sdwa v12, v17, v12 dst_sel:DWORD dst_unused:UNUSED_PAD src0_sel:DWORD src1_sel:WORD_1
	v_fmamk_f16 v14, v14, 0x2b26, v10
	v_fmamk_f16 v15, v15, 0x2b26, v11
	v_fma_f16 v19, v22, 0x39e0, -v19
	v_fma_f16 v21, v23, 0x39e0, -v21
	;; [unrolled: 1-line block ×4, first 2 shown]
	v_fmamk_f16 v22, v7, 0x3574, v24
	v_fmamk_f16 v23, v8, 0x3574, v25
	v_fma_f16 v24, v28, 0x3b00, -v24
	v_fma_f16 v26, v7, 0xb574, -v26
	;; [unrolled: 1-line block ×3, first 2 shown]
	v_fmamk_f16 v7, v16, 0xbcab, v6
	v_fmamk_f16 v8, v17, 0xbcab, v12
	v_fma_f16 v25, v9, 0x3b00, -v25
	v_fmac_f16_e32 v22, 0x370e, v4
	v_fmac_f16_e32 v23, 0x370e, v13
	v_fmac_f16_e32 v24, 0x370e, v4
	v_fmac_f16_e32 v26, 0x370e, v4
	v_add_f16_e32 v4, v14, v7
	v_add_f16_e32 v29, v15, v8
	v_fmac_f16_e32 v25, 0x370e, v13
	v_fmac_f16_e32 v27, 0x370e, v13
	v_add_f16_e32 v14, v19, v7
	v_add_f16_e32 v17, v10, v7
	;; [unrolled: 1-line block ×5, first 2 shown]
	v_sub_f16_e32 v13, v29, v22
	v_add_f16_e32 v8, v27, v17
	v_sub_f16_e32 v15, v19, v26
	v_sub_f16_e32 v9, v14, v25
	v_add_f16_e32 v16, v24, v11
	v_add_f16_e32 v10, v25, v14
	v_sub_f16_e32 v14, v11, v24
	v_sub_f16_e32 v11, v17, v27
	v_add_f16_e32 v17, v26, v19
	v_sub_f16_e32 v4, v4, v23
	v_add_f16_e32 v19, v22, v29
	v_pack_b32_f16 v28, v6, v12
	v_pack_b32_f16 v21, v7, v13
	;; [unrolled: 1-line block ×7, first 2 shown]
	ds_write2_b32 v20, v28, v21 offset1:13
	ds_write2_b32 v20, v22, v23 offset0:26 offset1:39
	ds_write2_b32 v20, v24, v25 offset0:52 offset1:65
	ds_write_b32 v20, v26 offset:312
	s_waitcnt lgkmcnt(0)
	s_barrier
	buffer_gl0_inv
	s_and_saveexec_b32 s1, s0
	s_cbranch_execz .LBB0_15
; %bb.14:
	v_add_nc_u32_e32 v1, 0x200, v18
	v_add_nc_u32_e32 v4, 0x400, v18
	;; [unrolled: 1-line block ×3, first 2 shown]
	ds_read2_b32 v[6:7], v18 offset1:91
	ds_read2_b32 v[8:9], v1 offset0:54 offset1:145
	ds_read2_b32 v[10:11], v4 offset0:108 offset1:199
	;; [unrolled: 1-line block ×3, first 2 shown]
	s_waitcnt lgkmcnt(3)
	v_lshrrev_b32_e32 v12, 16, v6
	v_lshrrev_b32_e32 v13, 16, v7
	s_waitcnt lgkmcnt(2)
	v_lshrrev_b32_e32 v15, 16, v8
	v_lshrrev_b32_e32 v16, 16, v9
	;; [unrolled: 3-line block ×4, first 2 shown]
.LBB0_15:
	s_or_b32 exec_lo, exec_lo, s1
	s_barrier
	buffer_gl0_inv
	s_and_saveexec_b32 s1, s0
	s_cbranch_execz .LBB0_17
; %bb.16:
	v_add_nc_u32_e32 v20, 0xffffffa5, v0
	v_mov_b32_e32 v21, 0
	v_add_nc_u32_e32 v27, 0x200, v18
	v_add_nc_u32_e32 v28, 0x400, v18
	v_cndmask_b32_e64 v20, v20, v0, s0
	v_mul_i32_i24_e32 v20, 7, v20
	v_lshlrev_b64 v[20:21], 2, v[20:21]
	v_add_co_u32 v24, s0, s8, v20
	v_add_co_ci_u32_e64 v25, s0, s9, v21, s0
	s_clause 0x1
	global_load_dwordx4 v[20:23], v[24:25], off offset:312
	global_load_dwordx3 v[24:26], v[24:25], off offset:328
	s_waitcnt vmcnt(1)
	v_mul_f16_sdwa v29, v14, v23 dst_sel:DWORD dst_unused:UNUSED_PAD src0_sel:DWORD src1_sel:WORD_1
	v_mul_f16_sdwa v30, v8, v21 dst_sel:DWORD dst_unused:UNUSED_PAD src0_sel:DWORD src1_sel:WORD_1
	s_waitcnt vmcnt(0)
	v_mul_f16_sdwa v31, v4, v25 dst_sel:DWORD dst_unused:UNUSED_PAD src0_sel:DWORD src1_sel:WORD_1
	v_mul_f16_sdwa v32, v13, v20 dst_sel:DWORD dst_unused:UNUSED_PAD src0_sel:DWORD src1_sel:WORD_1
	;; [unrolled: 1-line block ×12, first 2 shown]
	v_fma_f16 v10, v10, v23, -v29
	v_fmac_f16_e32 v30, v15, v21
	v_fmac_f16_e32 v31, v19, v25
	v_fma_f16 v7, v7, v20, -v32
	v_fma_f16 v11, v11, v24, -v33
	v_fmac_f16_e32 v34, v16, v22
	v_fmac_f16_e32 v35, v1, v26
	;; [unrolled: 1-line block ×4, first 2 shown]
	v_fma_f16 v1, v9, v22, -v38
	v_fma_f16 v5, v5, v26, -v39
	v_fmac_f16_e32 v40, v14, v23
	v_fma_f16 v8, v8, v21, -v41
	v_fma_f16 v4, v4, v25, -v42
	v_sub_f16_e32 v9, v6, v10
	v_sub_f16_e32 v10, v30, v31
	v_sub_f16_e32 v11, v7, v11
	v_sub_f16_e32 v13, v34, v35
	v_sub_f16_e32 v14, v36, v37
	v_sub_f16_e32 v5, v1, v5
	v_sub_f16_e32 v15, v12, v40
	v_sub_f16_e32 v4, v8, v4
	v_sub_f16_e32 v17, v9, v10
	v_sub_f16_e32 v19, v11, v13
	v_add_f16_e32 v20, v14, v5
	v_fma_f16 v6, v6, 2.0, -v9
	v_add_f16_e32 v21, v15, v4
	v_fma_f16 v4, v8, 2.0, -v4
	v_fma_f16 v8, v36, 2.0, -v14
	;; [unrolled: 1-line block ×7, first 2 shown]
	v_fmamk_f16 v5, v19, 0x39a8, v17
	v_sub_f16_e32 v4, v6, v4
	v_sub_f16_e32 v13, v8, v13
	;; [unrolled: 1-line block ×4, first 2 shown]
	v_fma_f16 v9, v9, 2.0, -v17
	v_fma_f16 v11, v11, 2.0, -v19
	;; [unrolled: 1-line block ×4, first 2 shown]
	v_fmamk_f16 v22, v20, 0x39a8, v21
	v_fmac_f16_e32 v5, 0xb9a8, v20
	v_add_f16_e32 v20, v10, v1
	v_fmamk_f16 v23, v11, 0xb9a8, v9
	v_fmamk_f16 v24, v14, 0xb9a8, v15
	v_fma_f16 v6, v6, 2.0, -v4
	v_fma_f16 v1, v7, 2.0, -v1
	;; [unrolled: 1-line block ×4, first 2 shown]
	v_fmac_f16_e32 v22, 0x39a8, v19
	v_sub_f16_e32 v19, v4, v13
	v_fmac_f16_e32 v23, 0xb9a8, v14
	v_fmac_f16_e32 v24, 0x39a8, v11
	v_sub_f16_e32 v1, v6, v1
	v_sub_f16_e32 v8, v7, v8
	v_fma_f16 v12, v17, 2.0, -v5
	v_fma_f16 v13, v21, 2.0, -v22
	;; [unrolled: 1-line block ×8, first 2 shown]
	v_pack_b32_f16 v4, v4, v10
	v_pack_b32_f16 v10, v12, v13
	;; [unrolled: 1-line block ×6, first 2 shown]
	v_add_nc_u32_e32 v16, 0x800, v18
	v_pack_b32_f16 v11, v19, v20
	v_pack_b32_f16 v5, v5, v22
	ds_write2_b32 v27, v4, v10 offset0:54 offset1:145
	ds_write2_b32 v28, v1, v8 offset0:108 offset1:199
	ds_write2_b32 v18, v6, v7 offset1:91
	ds_write2_b32 v16, v11, v5 offset0:34 offset1:125
.LBB0_17:
	s_or_b32 exec_lo, exec_lo, s1
	s_waitcnt lgkmcnt(0)
	s_barrier
	buffer_gl0_inv
	ds_read_b32 v6, v18
	v_lshlrev_b32_e32 v1, 2, v0
	s_add_u32 s1, s8, 0xb2c
	s_addc_u32 s4, s9, 0
	s_mov_b32 s5, exec_lo
                                        ; implicit-def: $vgpr11
                                        ; implicit-def: $vgpr10
                                        ; implicit-def: $vgpr9
                                        ; implicit-def: $vgpr4_vgpr5
	v_sub_nc_u32_e32 v8, 0, v1
	v_cmpx_ne_u32_e32 0, v0
	s_xor_b32 s5, exec_lo, s5
	s_cbranch_execz .LBB0_19
; %bb.18:
	v_mov_b32_e32 v1, 0
	v_lshlrev_b64 v[4:5], 2, v[0:1]
	v_add_co_u32 v4, s0, s1, v4
	v_add_co_ci_u32_e64 v5, s0, s4, v5, s0
	global_load_dword v4, v[4:5], off
	ds_read_b32 v5, v8 offset:2912
	s_waitcnt lgkmcnt(0)
	v_sub_f16_e32 v7, v6, v5
	v_add_f16_sdwa v9, v5, v6 dst_sel:DWORD dst_unused:UNUSED_PAD src0_sel:WORD_1 src1_sel:WORD_1
	v_sub_f16_sdwa v10, v6, v5 dst_sel:DWORD dst_unused:UNUSED_PAD src0_sel:WORD_1 src1_sel:WORD_1
	v_add_f16_e32 v5, v5, v6
	v_mul_f16_e32 v7, 0.5, v7
	v_mul_f16_e32 v6, 0.5, v9
	;; [unrolled: 1-line block ×3, first 2 shown]
	s_waitcnt vmcnt(0)
	v_lshrrev_b32_e32 v11, 16, v4
	v_mul_f16_e32 v10, v11, v7
	v_fma_f16 v12, v6, v11, v9
	v_fma_f16 v11, v6, v11, -v9
	v_fma_f16 v13, 0.5, v5, v10
	v_fma_f16 v5, v5, 0.5, -v10
	v_fma_f16 v9, -v4, v7, v12
	v_fma_f16 v11, -v4, v7, v11
	v_fmac_f16_e32 v13, v4, v6
	v_fma_f16 v10, -v4, v6, v5
	v_mov_b32_e32 v5, v1
	v_mov_b32_e32 v4, v0
                                        ; implicit-def: $vgpr6
	ds_write_b16 v18, v13
.LBB0_19:
	s_andn2_saveexec_b32 s0, s5
	s_cbranch_execz .LBB0_21
; %bb.20:
	v_mov_b32_e32 v9, 0
	v_mov_b32_e32 v4, 0
	s_waitcnt lgkmcnt(0)
	v_add_f16_sdwa v7, v6, v6 dst_sel:DWORD dst_unused:UNUSED_PAD src0_sel:WORD_1 src1_sel:DWORD
	v_sub_f16_sdwa v10, v6, v6 dst_sel:DWORD dst_unused:UNUSED_PAD src0_sel:DWORD src1_sel:WORD_1
	v_mov_b32_e32 v5, 0
	ds_read_u16 v1, v9 offset:1458
	v_mov_b32_e32 v11, 0
	s_waitcnt lgkmcnt(0)
	v_xor_b32_e32 v1, 0x8000, v1
	ds_write_b16 v18, v7
	ds_write_b16 v9, v1 offset:1458
.LBB0_21:
	s_or_b32 exec_lo, exec_lo, s0
	v_lshlrev_b64 v[4:5], 2, v[4:5]
	v_perm_b32 v10, v11, v10, 0x5040100
	s_waitcnt lgkmcnt(0)
	v_add_co_u32 v6, s0, s1, v4
	v_add_co_ci_u32_e64 v7, s0, s4, v5, s0
	s_mov_b32 s1, exec_lo
	s_clause 0x1
	global_load_dword v1, v[6:7], off offset:416
	global_load_dword v12, v[6:7], off offset:832
	ds_write_b16 v18, v9 offset:2
	ds_write_b32 v8, v10 offset:2912
	ds_read_b32 v9, v8 offset:2496
	ds_read_b32 v10, v18 offset:416
	s_waitcnt lgkmcnt(0)
	v_pk_add_f16 v11, v10, v9 neg_lo:[0,1] neg_hi:[0,1]
	v_pk_add_f16 v9, v10, v9
	v_bfi_b32 v10, 0xffff, v11, v9
	v_bfi_b32 v9, 0xffff, v9, v11
	v_pk_mul_f16 v10, v10, 0.5 op_sel_hi:[1,0]
	v_pk_mul_f16 v9, v9, 0.5 op_sel_hi:[1,0]
	s_waitcnt vmcnt(1)
	v_pk_fma_f16 v11, v1, v10, v9 op_sel:[1,0,0]
	v_pk_mul_f16 v13, v1, v10 op_sel_hi:[0,1]
	v_pk_fma_f16 v14, v1, v10, v9 op_sel:[1,0,0] neg_lo:[1,0,0] neg_hi:[1,0,0]
	v_pk_fma_f16 v1, v1, v10, v9 op_sel:[1,0,0] neg_lo:[0,0,1] neg_hi:[0,0,1]
	v_pk_add_f16 v9, v11, v13 op_sel:[0,1] op_sel_hi:[1,0]
	v_pk_add_f16 v10, v11, v13 op_sel:[0,1] op_sel_hi:[1,0] neg_lo:[0,1] neg_hi:[0,1]
	v_pk_add_f16 v11, v14, v13 op_sel:[0,1] op_sel_hi:[1,0] neg_lo:[0,1] neg_hi:[0,1]
	;; [unrolled: 1-line block ×3, first 2 shown]
	v_bfi_b32 v9, 0xffff, v9, v10
	v_bfi_b32 v1, 0xffff, v11, v1
	ds_write_b32 v18, v9 offset:416
	ds_write_b32 v8, v1 offset:2496
	ds_read_b32 v1, v18 offset:832
	ds_read_b32 v9, v8 offset:2080
	s_waitcnt lgkmcnt(0)
	v_pk_add_f16 v10, v1, v9 neg_lo:[0,1] neg_hi:[0,1]
	v_pk_add_f16 v1, v1, v9
	v_bfi_b32 v9, 0xffff, v10, v1
	v_bfi_b32 v1, 0xffff, v1, v10
	v_pk_mul_f16 v9, v9, 0.5 op_sel_hi:[1,0]
	v_pk_mul_f16 v1, v1, 0.5 op_sel_hi:[1,0]
	s_waitcnt vmcnt(0)
	v_pk_mul_f16 v11, v12, v9 op_sel_hi:[0,1]
	v_pk_fma_f16 v10, v12, v9, v1 op_sel:[1,0,0]
	v_pk_fma_f16 v13, v12, v9, v1 op_sel:[1,0,0] neg_lo:[1,0,0] neg_hi:[1,0,0]
	v_pk_fma_f16 v1, v12, v9, v1 op_sel:[1,0,0] neg_lo:[0,0,1] neg_hi:[0,0,1]
	v_pk_add_f16 v9, v10, v11 op_sel:[0,1] op_sel_hi:[1,0]
	v_pk_add_f16 v10, v10, v11 op_sel:[0,1] op_sel_hi:[1,0] neg_lo:[0,1] neg_hi:[0,1]
	v_pk_add_f16 v12, v13, v11 op_sel:[0,1] op_sel_hi:[1,0] neg_lo:[0,1] neg_hi:[0,1]
	;; [unrolled: 1-line block ×3, first 2 shown]
	v_bfi_b32 v9, 0xffff, v9, v10
	v_bfi_b32 v1, 0xffff, v12, v1
	ds_write_b32 v18, v9 offset:832
	ds_write_b32 v8, v1 offset:2080
	v_cmpx_gt_u32_e32 52, v0
	s_cbranch_execz .LBB0_23
; %bb.22:
	global_load_dword v1, v[6:7], off offset:1248
	ds_read_b32 v6, v18 offset:1248
	ds_read_b32 v7, v8 offset:1664
	s_waitcnt lgkmcnt(0)
	v_pk_add_f16 v9, v6, v7 neg_lo:[0,1] neg_hi:[0,1]
	v_pk_add_f16 v6, v6, v7
	v_bfi_b32 v7, 0xffff, v9, v6
	v_bfi_b32 v6, 0xffff, v6, v9
	v_pk_mul_f16 v7, v7, 0.5 op_sel_hi:[1,0]
	v_pk_mul_f16 v6, v6, 0.5 op_sel_hi:[1,0]
	s_waitcnt vmcnt(0)
	v_pk_fma_f16 v9, v1, v7, v6 op_sel:[1,0,0]
	v_pk_mul_f16 v10, v1, v7 op_sel_hi:[0,1]
	v_pk_fma_f16 v11, v1, v7, v6 op_sel:[1,0,0] neg_lo:[1,0,0] neg_hi:[1,0,0]
	v_pk_fma_f16 v1, v1, v7, v6 op_sel:[1,0,0] neg_lo:[0,0,1] neg_hi:[0,0,1]
	v_pk_add_f16 v6, v9, v10 op_sel:[0,1] op_sel_hi:[1,0]
	v_pk_add_f16 v7, v9, v10 op_sel:[0,1] op_sel_hi:[1,0] neg_lo:[0,1] neg_hi:[0,1]
	v_pk_add_f16 v9, v11, v10 op_sel:[0,1] op_sel_hi:[1,0] neg_lo:[0,1] neg_hi:[0,1]
	;; [unrolled: 1-line block ×3, first 2 shown]
	v_bfi_b32 v6, 0xffff, v6, v7
	v_bfi_b32 v1, 0xffff, v9, v1
	ds_write_b32 v18, v6 offset:1248
	ds_write_b32 v8, v1 offset:1664
.LBB0_23:
	s_or_b32 exec_lo, exec_lo, s1
	s_waitcnt lgkmcnt(0)
	s_barrier
	buffer_gl0_inv
	s_and_saveexec_b32 s0, vcc_lo
	s_cbranch_execz .LBB0_26
; %bb.24:
	v_add_nc_u32_e32 v1, 0x200, v18
	v_add_nc_u32_e32 v10, 0x600, v18
	ds_read2_b32 v[6:7], v18 offset1:104
	ds_read2_b32 v[8:9], v1 offset0:80 offset1:184
	ds_read2_b32 v[10:11], v10 offset0:32 offset1:136
	ds_read_b32 v14, v18 offset:2496
	v_add_co_u32 v1, vcc_lo, s2, v2
	v_add_co_ci_u32_e32 v2, vcc_lo, s3, v3, vcc_lo
	v_add_co_u32 v3, vcc_lo, v1, v4
	v_add_co_ci_u32_e32 v4, vcc_lo, v2, v5, vcc_lo
	v_cmp_eq_u32_e32 vcc_lo, 0x67, v0
	v_add_co_u32 v12, s0, 0x800, v3
	v_add_co_ci_u32_e64 v13, s0, 0, v4, s0
	s_waitcnt lgkmcnt(3)
	global_store_dword v[3:4], v6, off
	global_store_dword v[3:4], v7, off offset:416
	s_waitcnt lgkmcnt(2)
	global_store_dword v[3:4], v8, off offset:832
	global_store_dword v[3:4], v9, off offset:1248
	s_waitcnt lgkmcnt(1)
	global_store_dword v[3:4], v10, off offset:1664
	global_store_dword v[12:13], v11, off offset:32
	s_waitcnt lgkmcnt(0)
	global_store_dword v[12:13], v14, off offset:448
	s_and_b32 exec_lo, exec_lo, vcc_lo
	s_cbranch_execz .LBB0_26
; %bb.25:
	v_mov_b32_e32 v0, 0
	ds_read_b32 v3, v0 offset:2912
	v_add_co_u32 v0, vcc_lo, 0x800, v1
	v_add_co_ci_u32_e32 v1, vcc_lo, 0, v2, vcc_lo
	s_waitcnt lgkmcnt(0)
	global_store_dword v[0:1], v3, off offset:864
.LBB0_26:
	s_endpgm
	.section	.rodata,"a",@progbits
	.p2align	6, 0x0
	.amdhsa_kernel fft_rtc_fwd_len728_factors_13_7_8_wgs_104_tpt_104_halfLds_half_ip_CI_unitstride_sbrr_R2C_dirReg
		.amdhsa_group_segment_fixed_size 0
		.amdhsa_private_segment_fixed_size 0
		.amdhsa_kernarg_size 88
		.amdhsa_user_sgpr_count 6
		.amdhsa_user_sgpr_private_segment_buffer 1
		.amdhsa_user_sgpr_dispatch_ptr 0
		.amdhsa_user_sgpr_queue_ptr 0
		.amdhsa_user_sgpr_kernarg_segment_ptr 1
		.amdhsa_user_sgpr_dispatch_id 0
		.amdhsa_user_sgpr_flat_scratch_init 0
		.amdhsa_user_sgpr_private_segment_size 0
		.amdhsa_wavefront_size32 1
		.amdhsa_uses_dynamic_stack 0
		.amdhsa_system_sgpr_private_segment_wavefront_offset 0
		.amdhsa_system_sgpr_workgroup_id_x 1
		.amdhsa_system_sgpr_workgroup_id_y 0
		.amdhsa_system_sgpr_workgroup_id_z 0
		.amdhsa_system_sgpr_workgroup_info 0
		.amdhsa_system_vgpr_workitem_id 0
		.amdhsa_next_free_vgpr 98
		.amdhsa_next_free_sgpr 21
		.amdhsa_reserve_vcc 1
		.amdhsa_reserve_flat_scratch 0
		.amdhsa_float_round_mode_32 0
		.amdhsa_float_round_mode_16_64 0
		.amdhsa_float_denorm_mode_32 3
		.amdhsa_float_denorm_mode_16_64 3
		.amdhsa_dx10_clamp 1
		.amdhsa_ieee_mode 1
		.amdhsa_fp16_overflow 0
		.amdhsa_workgroup_processor_mode 1
		.amdhsa_memory_ordered 1
		.amdhsa_forward_progress 0
		.amdhsa_shared_vgpr_count 0
		.amdhsa_exception_fp_ieee_invalid_op 0
		.amdhsa_exception_fp_denorm_src 0
		.amdhsa_exception_fp_ieee_div_zero 0
		.amdhsa_exception_fp_ieee_overflow 0
		.amdhsa_exception_fp_ieee_underflow 0
		.amdhsa_exception_fp_ieee_inexact 0
		.amdhsa_exception_int_div_zero 0
	.end_amdhsa_kernel
	.text
.Lfunc_end0:
	.size	fft_rtc_fwd_len728_factors_13_7_8_wgs_104_tpt_104_halfLds_half_ip_CI_unitstride_sbrr_R2C_dirReg, .Lfunc_end0-fft_rtc_fwd_len728_factors_13_7_8_wgs_104_tpt_104_halfLds_half_ip_CI_unitstride_sbrr_R2C_dirReg
                                        ; -- End function
	.section	.AMDGPU.csdata,"",@progbits
; Kernel info:
; codeLenInByte = 7636
; NumSgprs: 23
; NumVgprs: 98
; ScratchSize: 0
; MemoryBound: 0
; FloatMode: 240
; IeeeMode: 1
; LDSByteSize: 0 bytes/workgroup (compile time only)
; SGPRBlocks: 2
; VGPRBlocks: 12
; NumSGPRsForWavesPerEU: 23
; NumVGPRsForWavesPerEU: 98
; Occupancy: 9
; WaveLimiterHint : 1
; COMPUTE_PGM_RSRC2:SCRATCH_EN: 0
; COMPUTE_PGM_RSRC2:USER_SGPR: 6
; COMPUTE_PGM_RSRC2:TRAP_HANDLER: 0
; COMPUTE_PGM_RSRC2:TGID_X_EN: 1
; COMPUTE_PGM_RSRC2:TGID_Y_EN: 0
; COMPUTE_PGM_RSRC2:TGID_Z_EN: 0
; COMPUTE_PGM_RSRC2:TIDIG_COMP_CNT: 0
	.text
	.p2alignl 6, 3214868480
	.fill 48, 4, 3214868480
	.type	__hip_cuid_eef427bdc404eca4,@object ; @__hip_cuid_eef427bdc404eca4
	.section	.bss,"aw",@nobits
	.globl	__hip_cuid_eef427bdc404eca4
__hip_cuid_eef427bdc404eca4:
	.byte	0                               ; 0x0
	.size	__hip_cuid_eef427bdc404eca4, 1

	.ident	"AMD clang version 19.0.0git (https://github.com/RadeonOpenCompute/llvm-project roc-6.4.0 25133 c7fe45cf4b819c5991fe208aaa96edf142730f1d)"
	.section	".note.GNU-stack","",@progbits
	.addrsig
	.addrsig_sym __hip_cuid_eef427bdc404eca4
	.amdgpu_metadata
---
amdhsa.kernels:
  - .args:
      - .actual_access:  read_only
        .address_space:  global
        .offset:         0
        .size:           8
        .value_kind:     global_buffer
      - .offset:         8
        .size:           8
        .value_kind:     by_value
      - .actual_access:  read_only
        .address_space:  global
        .offset:         16
        .size:           8
        .value_kind:     global_buffer
      - .actual_access:  read_only
        .address_space:  global
        .offset:         24
        .size:           8
        .value_kind:     global_buffer
      - .offset:         32
        .size:           8
        .value_kind:     by_value
      - .actual_access:  read_only
        .address_space:  global
        .offset:         40
        .size:           8
        .value_kind:     global_buffer
      - .actual_access:  read_only
        .address_space:  global
        .offset:         48
        .size:           8
        .value_kind:     global_buffer
      - .offset:         56
        .size:           4
        .value_kind:     by_value
      - .actual_access:  read_only
        .address_space:  global
        .offset:         64
        .size:           8
        .value_kind:     global_buffer
      - .actual_access:  read_only
        .address_space:  global
        .offset:         72
        .size:           8
        .value_kind:     global_buffer
      - .address_space:  global
        .offset:         80
        .size:           8
        .value_kind:     global_buffer
    .group_segment_fixed_size: 0
    .kernarg_segment_align: 8
    .kernarg_segment_size: 88
    .language:       OpenCL C
    .language_version:
      - 2
      - 0
    .max_flat_workgroup_size: 104
    .name:           fft_rtc_fwd_len728_factors_13_7_8_wgs_104_tpt_104_halfLds_half_ip_CI_unitstride_sbrr_R2C_dirReg
    .private_segment_fixed_size: 0
    .sgpr_count:     23
    .sgpr_spill_count: 0
    .symbol:         fft_rtc_fwd_len728_factors_13_7_8_wgs_104_tpt_104_halfLds_half_ip_CI_unitstride_sbrr_R2C_dirReg.kd
    .uniform_work_group_size: 1
    .uses_dynamic_stack: false
    .vgpr_count:     98
    .vgpr_spill_count: 0
    .wavefront_size: 32
    .workgroup_processor_mode: 1
amdhsa.target:   amdgcn-amd-amdhsa--gfx1030
amdhsa.version:
  - 1
  - 2
...

	.end_amdgpu_metadata
